;; amdgpu-corpus repo=ROCm/rocFFT kind=compiled arch=gfx906 opt=O3
	.text
	.amdgcn_target "amdgcn-amd-amdhsa--gfx906"
	.amdhsa_code_object_version 6
	.protected	fft_rtc_fwd_len792_factors_2_2_2_3_3_11_wgs_176_tpt_88_sp_ip_CI_unitstride_sbrr_R2C_dirReg ; -- Begin function fft_rtc_fwd_len792_factors_2_2_2_3_3_11_wgs_176_tpt_88_sp_ip_CI_unitstride_sbrr_R2C_dirReg
	.globl	fft_rtc_fwd_len792_factors_2_2_2_3_3_11_wgs_176_tpt_88_sp_ip_CI_unitstride_sbrr_R2C_dirReg
	.p2align	8
	.type	fft_rtc_fwd_len792_factors_2_2_2_3_3_11_wgs_176_tpt_88_sp_ip_CI_unitstride_sbrr_R2C_dirReg,@function
fft_rtc_fwd_len792_factors_2_2_2_3_3_11_wgs_176_tpt_88_sp_ip_CI_unitstride_sbrr_R2C_dirReg: ; @fft_rtc_fwd_len792_factors_2_2_2_3_3_11_wgs_176_tpt_88_sp_ip_CI_unitstride_sbrr_R2C_dirReg
; %bb.0:
	s_load_dwordx2 s[12:13], s[4:5], 0x50
	s_load_dwordx4 s[8:11], s[4:5], 0x0
	s_load_dwordx2 s[2:3], s[4:5], 0x18
	v_mul_u32_u24_e32 v1, 0x2e9, v0
	v_lshrrev_b32_e32 v9, 16, v1
	v_mov_b32_e32 v3, 0
	s_waitcnt lgkmcnt(0)
	v_cmp_lt_u64_e64 s[0:1], s[10:11], 2
	v_mov_b32_e32 v1, 0
	v_lshl_add_u32 v5, s6, 1, v9
	v_mov_b32_e32 v6, v3
	s_and_b64 vcc, exec, s[0:1]
	v_mov_b32_e32 v2, 0
	s_cbranch_vccnz .LBB0_8
; %bb.1:
	s_load_dwordx2 s[0:1], s[4:5], 0x10
	s_add_u32 s6, s2, 8
	s_addc_u32 s7, s3, 0
	v_mov_b32_e32 v1, 0
	v_mov_b32_e32 v2, 0
	s_waitcnt lgkmcnt(0)
	s_add_u32 s14, s0, 8
	s_addc_u32 s15, s1, 0
	s_mov_b64 s[16:17], 1
.LBB0_2:                                ; =>This Inner Loop Header: Depth=1
	s_load_dwordx2 s[18:19], s[14:15], 0x0
                                        ; implicit-def: $vgpr7_vgpr8
	s_waitcnt lgkmcnt(0)
	v_or_b32_e32 v4, s19, v6
	v_cmp_ne_u64_e32 vcc, 0, v[3:4]
	s_and_saveexec_b64 s[0:1], vcc
	s_xor_b64 s[20:21], exec, s[0:1]
	s_cbranch_execz .LBB0_4
; %bb.3:                                ;   in Loop: Header=BB0_2 Depth=1
	v_cvt_f32_u32_e32 v4, s18
	v_cvt_f32_u32_e32 v7, s19
	s_sub_u32 s0, 0, s18
	s_subb_u32 s1, 0, s19
	v_mac_f32_e32 v4, 0x4f800000, v7
	v_rcp_f32_e32 v4, v4
	v_mul_f32_e32 v4, 0x5f7ffffc, v4
	v_mul_f32_e32 v7, 0x2f800000, v4
	v_trunc_f32_e32 v7, v7
	v_mac_f32_e32 v4, 0xcf800000, v7
	v_cvt_u32_f32_e32 v7, v7
	v_cvt_u32_f32_e32 v4, v4
	v_mul_lo_u32 v8, s0, v7
	v_mul_hi_u32 v10, s0, v4
	v_mul_lo_u32 v12, s1, v4
	v_mul_lo_u32 v11, s0, v4
	v_add_u32_e32 v8, v10, v8
	v_add_u32_e32 v8, v8, v12
	v_mul_hi_u32 v10, v4, v11
	v_mul_lo_u32 v12, v4, v8
	v_mul_hi_u32 v14, v4, v8
	v_mul_hi_u32 v13, v7, v11
	v_mul_lo_u32 v11, v7, v11
	v_mul_hi_u32 v15, v7, v8
	v_add_co_u32_e32 v10, vcc, v10, v12
	v_addc_co_u32_e32 v12, vcc, 0, v14, vcc
	v_mul_lo_u32 v8, v7, v8
	v_add_co_u32_e32 v10, vcc, v10, v11
	v_addc_co_u32_e32 v10, vcc, v12, v13, vcc
	v_addc_co_u32_e32 v11, vcc, 0, v15, vcc
	v_add_co_u32_e32 v8, vcc, v10, v8
	v_addc_co_u32_e32 v10, vcc, 0, v11, vcc
	v_add_co_u32_e32 v4, vcc, v4, v8
	v_addc_co_u32_e32 v7, vcc, v7, v10, vcc
	v_mul_lo_u32 v8, s0, v7
	v_mul_hi_u32 v10, s0, v4
	v_mul_lo_u32 v11, s1, v4
	v_mul_lo_u32 v12, s0, v4
	v_add_u32_e32 v8, v10, v8
	v_add_u32_e32 v8, v8, v11
	v_mul_lo_u32 v13, v4, v8
	v_mul_hi_u32 v14, v4, v12
	v_mul_hi_u32 v15, v4, v8
	;; [unrolled: 1-line block ×3, first 2 shown]
	v_mul_lo_u32 v12, v7, v12
	v_mul_hi_u32 v10, v7, v8
	v_add_co_u32_e32 v13, vcc, v14, v13
	v_addc_co_u32_e32 v14, vcc, 0, v15, vcc
	v_mul_lo_u32 v8, v7, v8
	v_add_co_u32_e32 v12, vcc, v13, v12
	v_addc_co_u32_e32 v11, vcc, v14, v11, vcc
	v_addc_co_u32_e32 v10, vcc, 0, v10, vcc
	v_add_co_u32_e32 v8, vcc, v11, v8
	v_addc_co_u32_e32 v10, vcc, 0, v10, vcc
	v_add_co_u32_e32 v4, vcc, v4, v8
	v_addc_co_u32_e32 v10, vcc, v7, v10, vcc
	v_mad_u64_u32 v[7:8], s[0:1], v5, v10, 0
	v_mul_hi_u32 v11, v5, v4
	v_add_co_u32_e32 v12, vcc, v11, v7
	v_addc_co_u32_e32 v13, vcc, 0, v8, vcc
	v_mad_u64_u32 v[7:8], s[0:1], v6, v4, 0
	v_mad_u64_u32 v[10:11], s[0:1], v6, v10, 0
	v_add_co_u32_e32 v4, vcc, v12, v7
	v_addc_co_u32_e32 v4, vcc, v13, v8, vcc
	v_addc_co_u32_e32 v7, vcc, 0, v11, vcc
	v_add_co_u32_e32 v4, vcc, v4, v10
	v_addc_co_u32_e32 v10, vcc, 0, v7, vcc
	v_mul_lo_u32 v11, s19, v4
	v_mul_lo_u32 v12, s18, v10
	v_mad_u64_u32 v[7:8], s[0:1], s18, v4, 0
	v_add3_u32 v8, v8, v12, v11
	v_sub_u32_e32 v11, v6, v8
	v_mov_b32_e32 v12, s19
	v_sub_co_u32_e32 v7, vcc, v5, v7
	v_subb_co_u32_e64 v11, s[0:1], v11, v12, vcc
	v_subrev_co_u32_e64 v12, s[0:1], s18, v7
	v_subbrev_co_u32_e64 v11, s[0:1], 0, v11, s[0:1]
	v_cmp_le_u32_e64 s[0:1], s19, v11
	v_cndmask_b32_e64 v13, 0, -1, s[0:1]
	v_cmp_le_u32_e64 s[0:1], s18, v12
	v_cndmask_b32_e64 v12, 0, -1, s[0:1]
	v_cmp_eq_u32_e64 s[0:1], s19, v11
	v_cndmask_b32_e64 v11, v13, v12, s[0:1]
	v_add_co_u32_e64 v12, s[0:1], 2, v4
	v_addc_co_u32_e64 v13, s[0:1], 0, v10, s[0:1]
	v_add_co_u32_e64 v14, s[0:1], 1, v4
	v_addc_co_u32_e64 v15, s[0:1], 0, v10, s[0:1]
	v_subb_co_u32_e32 v8, vcc, v6, v8, vcc
	v_cmp_ne_u32_e64 s[0:1], 0, v11
	v_cmp_le_u32_e32 vcc, s19, v8
	v_cndmask_b32_e64 v11, v15, v13, s[0:1]
	v_cndmask_b32_e64 v13, 0, -1, vcc
	v_cmp_le_u32_e32 vcc, s18, v7
	v_cndmask_b32_e64 v7, 0, -1, vcc
	v_cmp_eq_u32_e32 vcc, s19, v8
	v_cndmask_b32_e32 v7, v13, v7, vcc
	v_cmp_ne_u32_e32 vcc, 0, v7
	v_cndmask_b32_e64 v7, v14, v12, s[0:1]
	v_cndmask_b32_e32 v8, v10, v11, vcc
	v_cndmask_b32_e32 v7, v4, v7, vcc
.LBB0_4:                                ;   in Loop: Header=BB0_2 Depth=1
	s_andn2_saveexec_b64 s[0:1], s[20:21]
	s_cbranch_execz .LBB0_6
; %bb.5:                                ;   in Loop: Header=BB0_2 Depth=1
	v_cvt_f32_u32_e32 v4, s18
	s_sub_i32 s20, 0, s18
	v_rcp_iflag_f32_e32 v4, v4
	v_mul_f32_e32 v4, 0x4f7ffffe, v4
	v_cvt_u32_f32_e32 v4, v4
	v_mul_lo_u32 v7, s20, v4
	v_mul_hi_u32 v7, v4, v7
	v_add_u32_e32 v4, v4, v7
	v_mul_hi_u32 v4, v5, v4
	v_mul_lo_u32 v7, v4, s18
	v_add_u32_e32 v8, 1, v4
	v_sub_u32_e32 v7, v5, v7
	v_subrev_u32_e32 v10, s18, v7
	v_cmp_le_u32_e32 vcc, s18, v7
	v_cndmask_b32_e32 v7, v7, v10, vcc
	v_cndmask_b32_e32 v4, v4, v8, vcc
	v_add_u32_e32 v8, 1, v4
	v_cmp_le_u32_e32 vcc, s18, v7
	v_cndmask_b32_e32 v7, v4, v8, vcc
	v_mov_b32_e32 v8, v3
.LBB0_6:                                ;   in Loop: Header=BB0_2 Depth=1
	s_or_b64 exec, exec, s[0:1]
	v_mul_lo_u32 v4, v8, s18
	v_mul_lo_u32 v12, v7, s19
	v_mad_u64_u32 v[10:11], s[0:1], v7, s18, 0
	s_load_dwordx2 s[0:1], s[6:7], 0x0
	s_add_u32 s16, s16, 1
	v_add3_u32 v4, v11, v12, v4
	v_sub_co_u32_e32 v5, vcc, v5, v10
	v_subb_co_u32_e32 v4, vcc, v6, v4, vcc
	s_waitcnt lgkmcnt(0)
	v_mul_lo_u32 v4, s0, v4
	v_mul_lo_u32 v6, s1, v5
	v_mad_u64_u32 v[1:2], s[0:1], s0, v5, v[1:2]
	s_addc_u32 s17, s17, 0
	s_add_u32 s6, s6, 8
	v_add3_u32 v2, v6, v2, v4
	v_mov_b32_e32 v4, s10
	v_mov_b32_e32 v5, s11
	s_addc_u32 s7, s7, 0
	v_cmp_ge_u64_e32 vcc, s[16:17], v[4:5]
	s_add_u32 s14, s14, 8
	s_addc_u32 s15, s15, 0
	s_cbranch_vccnz .LBB0_9
; %bb.7:                                ;   in Loop: Header=BB0_2 Depth=1
	v_mov_b32_e32 v5, v7
	v_mov_b32_e32 v6, v8
	s_branch .LBB0_2
.LBB0_8:
	v_mov_b32_e32 v8, v6
	v_mov_b32_e32 v7, v5
.LBB0_9:
	s_lshl_b64 s[0:1], s[10:11], 3
	s_add_u32 s0, s2, s0
	s_addc_u32 s1, s3, s1
	s_load_dwordx2 s[2:3], s[0:1], 0x0
	s_load_dwordx2 s[6:7], s[4:5], 0x20
	v_and_b32_e32 v5, 1, v9
	v_cmp_eq_u32_e32 vcc, 1, v5
                                        ; implicit-def: $vgpr25
                                        ; implicit-def: $vgpr29
                                        ; implicit-def: $vgpr27
                                        ; implicit-def: $vgpr24
	s_waitcnt lgkmcnt(0)
	v_mul_lo_u32 v3, s2, v8
	v_mul_lo_u32 v4, s3, v7
	v_mad_u64_u32 v[1:2], s[0:1], s2, v7, v[1:2]
	s_mov_b32 s0, 0x2e8ba2f
	v_cmp_le_u64_e64 s[2:3], s[6:7], v[7:8]
	v_add3_u32 v2, v4, v2, v3
	v_mul_hi_u32 v4, v0, s0
	v_cmp_gt_u64_e64 s[0:1], s[6:7], v[7:8]
	v_mov_b32_e32 v3, 0x319
	v_mul_u32_u24_e32 v4, 0x58, v4
	v_sub_u32_e32 v20, v0, v4
	s_and_saveexec_b64 s[4:5], s[2:3]
	s_xor_b64 s[2:3], exec, s[4:5]
; %bb.10:
	v_add_u32_e32 v25, 0x58, v20
	v_add_u32_e32 v29, 0xb0, v20
	;; [unrolled: 1-line block ×4, first 2 shown]
; %bb.11:
	s_or_saveexec_b64 s[2:3], s[2:3]
	v_cndmask_b32_e32 v0, 0, v3, vcc
	v_lshlrev_b64 v[22:23], 3, v[1:2]
	v_lshlrev_b32_e32 v28, 3, v0
	v_lshlrev_b32_e32 v26, 3, v20
	s_xor_b64 exec, exec, s[2:3]
	s_cbranch_execz .LBB0_13
; %bb.12:
	v_mov_b32_e32 v21, 0
	v_mov_b32_e32 v0, s13
	v_add_co_u32_e32 v2, vcc, s12, v22
	v_addc_co_u32_e32 v3, vcc, v0, v23, vcc
	v_lshlrev_b64 v[0:1], 3, v[20:21]
	v_add_u32_e32 v25, 0x58, v20
	v_add_co_u32_e32 v0, vcc, v2, v0
	v_addc_co_u32_e32 v1, vcc, v3, v1, vcc
	v_add_co_u32_e32 v10, vcc, 0x1000, v0
	global_load_dwordx2 v[2:3], v[0:1], off
	global_load_dwordx2 v[4:5], v[0:1], off offset:704
	global_load_dwordx2 v[6:7], v[0:1], off offset:1408
	global_load_dwordx2 v[8:9], v[0:1], off offset:2112
	v_addc_co_u32_e32 v11, vcc, 0, v1, vcc
	global_load_dwordx2 v[12:13], v[0:1], off offset:2816
	global_load_dwordx2 v[14:15], v[0:1], off offset:3520
	;; [unrolled: 1-line block ×5, first 2 shown]
	v_add3_u32 v0, 0, v28, v26
	v_add_u32_e32 v29, 0xb0, v20
	v_add_u32_e32 v27, 0x108, v20
	;; [unrolled: 1-line block ×6, first 2 shown]
	s_waitcnt vmcnt(7)
	ds_write2_b64 v0, v[2:3], v[4:5] offset1:88
	s_waitcnt vmcnt(5)
	ds_write2_b64 v1, v[6:7], v[8:9] offset0:48 offset1:136
	s_waitcnt vmcnt(3)
	ds_write2_b64 v10, v[12:13], v[14:15] offset0:96 offset1:184
	;; [unrolled: 2-line block ×3, first 2 shown]
	s_waitcnt vmcnt(0)
	ds_write_b64 v0, v[30:31] offset:5632
.LBB0_13:
	s_or_b64 exec, exec, s[2:3]
	v_add3_u32 v21, 0, v26, v28
	v_add_u32_e32 v33, 0, v28
	v_add_u32_e32 v0, 0x800, v21
	s_waitcnt lgkmcnt(0)
	s_barrier
	v_add_u32_e32 v32, v33, v26
	ds_read2_b64 v[3:6], v0 offset0:140 offset1:228
	ds_read_b64 v[1:2], v32
	ds_read_b64 v[30:31], v21 offset:5984
	v_cmp_gt_u32_e32 vcc, 44, v20
	s_waitcnt lgkmcnt(1)
	v_sub_f32_e32 v35, v2, v4
	v_add_u32_e32 v4, 0x1000, v21
	ds_read2_b64 v[7:10], v21 offset0:88 offset1:176
	ds_read2_b64 v[11:14], v4 offset0:60 offset1:148
	ds_read2_b64 v[15:18], v0 offset0:8 offset1:96
	v_sub_f32_e32 v34, v1, v3
	v_fma_f32 v1, v1, 2.0, -v34
	v_fma_f32 v2, v2, 2.0, -v35
	v_add_u32_e32 v3, v21, v26
	s_waitcnt lgkmcnt(0)
	s_barrier
	ds_write2_b64 v3, v[1:2], v[34:35] offset1:1
	v_sub_f32_e32 v1, v7, v5
	v_sub_f32_e32 v2, v8, v6
	v_lshl_add_u32 v5, v25, 4, 0
	v_fma_f32 v6, v7, 2.0, -v1
	v_fma_f32 v7, v8, 2.0, -v2
	v_add_u32_e32 v3, v5, v28
	ds_write2_b64 v3, v[6:7], v[1:2] offset1:1
	v_sub_f32_e32 v1, v9, v11
	v_sub_f32_e32 v2, v10, v12
	v_lshl_add_u32 v6, v29, 4, 0
	v_fma_f32 v7, v9, 2.0, -v1
	v_fma_f32 v8, v10, 2.0, -v2
	v_add_u32_e32 v3, v6, v28
	;; [unrolled: 7-line block ×3, first 2 shown]
	v_sub_f32_e32 v10, v17, v30
	v_sub_f32_e32 v11, v18, v31
	ds_write2_b64 v3, v[7:8], v[1:2] offset1:1
	v_fma_f32 v8, v17, 2.0, -v10
	v_fma_f32 v9, v18, 2.0, -v11
	s_and_saveexec_b64 s[2:3], vcc
	s_cbranch_execz .LBB0_15
; %bb.14:
	v_lshlrev_b32_e32 v1, 4, v24
	v_add3_u32 v1, 0, v1, v28
	ds_write2_b64 v1, v[8:9], v[10:11] offset1:1
.LBB0_15:
	s_or_b64 exec, exec, s[2:3]
	v_lshlrev_b32_e32 v7, 3, v25
	v_sub_u32_e32 v5, v5, v7
	v_add_u32_e32 v30, v5, v28
	v_lshlrev_b32_e32 v5, 3, v29
	v_lshlrev_b32_e32 v13, 3, v27
	v_sub_u32_e32 v5, v6, v5
	v_sub_u32_e32 v12, v12, v13
	s_waitcnt lgkmcnt(0)
	s_barrier
	ds_read2_b64 v[0:3], v0 offset0:140 offset1:228
	v_add_u32_e32 v31, v5, v28
	ds_read2_b64 v[4:7], v4 offset0:60 offset1:148
	v_add_u32_e32 v34, v12, v28
	ds_read_b64 v[18:19], v32
	ds_read_b64 v[16:17], v30
	;; [unrolled: 1-line block ×4, first 2 shown]
	v_lshlrev_b32_e32 v37, 1, v25
	v_lshlrev_b32_e32 v38, 1, v29
	;; [unrolled: 1-line block ×4, first 2 shown]
	s_and_saveexec_b64 s[2:3], vcc
	s_cbranch_execz .LBB0_17
; %bb.16:
	v_add3_u32 v8, 0, v35, v28
	ds_read_b64 v[8:9], v8
	ds_read_b64 v[10:11], v21 offset:5984
.LBB0_17:
	s_or_b64 exec, exec, s[2:3]
	v_and_b32_e32 v41, 1, v20
	v_lshlrev_b32_e32 v39, 3, v41
	global_load_dwordx2 v[42:43], v39, s[8:9]
	v_lshlrev_b32_e32 v39, 1, v20
	s_movk_i32 s2, 0xfc
	s_movk_i32 s3, 0x1fc
	s_movk_i32 s4, 0x3fc
	v_and_or_b32 v40, v39, s2, v41
	v_and_or_b32 v44, v37, s3, v41
	;; [unrolled: 1-line block ×4, first 2 shown]
	v_lshlrev_b32_e32 v40, 3, v40
	v_lshlrev_b32_e32 v44, 3, v44
	;; [unrolled: 1-line block ×4, first 2 shown]
	v_add3_u32 v40, 0, v40, v28
	s_waitcnt vmcnt(0) lgkmcnt(0)
	s_barrier
	v_add3_u32 v44, 0, v44, v28
	v_add3_u32 v45, 0, v45, v28
	;; [unrolled: 1-line block ×3, first 2 shown]
	v_mul_f32_e32 v47, v43, v1
	v_mul_f32_e32 v48, v43, v0
	;; [unrolled: 1-line block ×10, first 2 shown]
	v_fma_f32 v0, v42, v0, -v47
	v_fmac_f32_e32 v48, v42, v1
	v_fma_f32 v2, v42, v2, -v49
	v_fmac_f32_e32 v50, v42, v3
	;; [unrolled: 2-line block ×5, first 2 shown]
	v_sub_f32_e32 v0, v18, v0
	v_sub_f32_e32 v1, v19, v48
	;; [unrolled: 1-line block ×10, first 2 shown]
	v_fma_f32 v18, v18, 2.0, -v0
	v_fma_f32 v19, v19, 2.0, -v1
	;; [unrolled: 1-line block ×10, first 2 shown]
	ds_write2_b64 v40, v[18:19], v[0:1] offset1:2
	ds_write2_b64 v44, v[16:17], v[2:3] offset1:2
	;; [unrolled: 1-line block ×4, first 2 shown]
	v_lshlrev_b32_e32 v40, 1, v24
	s_and_saveexec_b64 s[2:3], vcc
	s_cbranch_execz .LBB0_19
; %bb.18:
	v_and_or_b32 v0, v40, s4, v41
	v_lshlrev_b32_e32 v0, 3, v0
	v_add3_u32 v0, 0, v0, v28
	ds_write2_b64 v0, v[8:9], v[10:11] offset1:2
.LBB0_19:
	s_or_b64 exec, exec, s[2:3]
	v_add_u32_e32 v0, 0x800, v21
	v_add_u32_e32 v4, 0x1000, v21
	s_waitcnt lgkmcnt(0)
	s_barrier
	ds_read2_b64 v[0:3], v0 offset0:140 offset1:228
	ds_read2_b64 v[4:7], v4 offset0:60 offset1:148
	ds_read_b64 v[18:19], v32
	ds_read_b64 v[14:15], v30
	ds_read_b64 v[12:13], v31
	ds_read_b64 v[16:17], v34
	s_and_saveexec_b64 s[2:3], vcc
	s_cbranch_execz .LBB0_21
; %bb.20:
	v_add3_u32 v8, 0, v35, v28
	ds_read_b64 v[8:9], v8
	ds_read_b64 v[10:11], v21 offset:5984
.LBB0_21:
	s_or_b64 exec, exec, s[2:3]
	v_and_b32_e32 v41, 3, v20
	v_lshlrev_b32_e32 v42, 3, v41
	global_load_dwordx2 v[42:43], v42, s[8:9] offset:16
	s_movk_i32 s2, 0xf8
	s_movk_i32 s3, 0x1f8
	;; [unrolled: 1-line block ×3, first 2 shown]
	v_and_or_b32 v39, v39, s2, v41
	v_and_or_b32 v37, v37, s3, v41
	;; [unrolled: 1-line block ×4, first 2 shown]
	v_lshlrev_b32_e32 v39, 3, v39
	v_lshlrev_b32_e32 v37, 3, v37
	;; [unrolled: 1-line block ×4, first 2 shown]
	v_add3_u32 v39, 0, v39, v28
	s_waitcnt vmcnt(0) lgkmcnt(0)
	s_barrier
	v_add3_u32 v37, 0, v37, v28
	v_add3_u32 v38, 0, v38, v28
	;; [unrolled: 1-line block ×3, first 2 shown]
	v_mul_f32_e32 v44, v43, v1
	v_mul_f32_e32 v45, v43, v0
	v_mul_f32_e32 v46, v43, v3
	v_mul_f32_e32 v47, v43, v2
	v_mul_f32_e32 v48, v43, v5
	v_mul_f32_e32 v49, v43, v4
	v_mul_f32_e32 v50, v43, v7
	v_mul_f32_e32 v51, v43, v6
	v_mul_f32_e32 v52, v11, v43
	v_mul_f32_e32 v43, v10, v43
	v_fma_f32 v0, v42, v0, -v44
	v_fmac_f32_e32 v45, v42, v1
	v_fma_f32 v1, v42, v2, -v46
	v_fmac_f32_e32 v47, v42, v3
	v_fma_f32 v44, v42, v4, -v48
	v_fmac_f32_e32 v49, v42, v5
	v_fma_f32 v46, v42, v6, -v50
	v_fmac_f32_e32 v51, v42, v7
	v_fma_f32 v48, v10, v42, -v52
	v_fmac_f32_e32 v43, v11, v42
	v_sub_f32_e32 v2, v18, v0
	v_sub_f32_e32 v3, v19, v45
	;; [unrolled: 1-line block ×10, first 2 shown]
	v_fma_f32 v18, v18, 2.0, -v2
	v_fma_f32 v19, v19, 2.0, -v3
	;; [unrolled: 1-line block ×8, first 2 shown]
	ds_write2_b64 v39, v[18:19], v[2:3] offset1:4
	ds_write2_b64 v37, v[14:15], v[4:5] offset1:4
	;; [unrolled: 1-line block ×4, first 2 shown]
	s_and_saveexec_b64 s[2:3], vcc
	s_cbranch_execz .LBB0_23
; %bb.22:
	v_and_or_b32 v4, v40, s4, v41
	v_lshlrev_b32_e32 v4, 3, v4
	v_fma_f32 v3, v9, 2.0, -v1
	v_fma_f32 v2, v8, 2.0, -v0
	v_add3_u32 v4, 0, v4, v28
	ds_write2_b64 v4, v[2:3], v[0:1] offset1:4
.LBB0_23:
	s_or_b64 exec, exec, s[2:3]
	v_and_b32_e32 v41, 7, v20
	v_lshlrev_b32_e32 v2, 4, v41
	s_waitcnt lgkmcnt(0)
	s_barrier
	global_load_dwordx4 v[4:7], v2, s[8:9] offset:48
	v_add_u32_e32 v3, 0xc00, v21
	ds_read_b64 v[16:17], v32
	ds_read_b64 v[18:19], v30
	v_add3_u32 v43, 0, v35, v28
	v_add_u32_e32 v2, 0x1000, v21
	ds_read_b64 v[35:36], v34
	ds_read_b64 v[37:38], v31
	ds_read2_b64 v[8:11], v3 offset0:56 offset1:144
	ds_read_b64 v[39:40], v43
	ds_read2_b64 v[12:15], v2 offset0:104 offset1:192
	s_waitcnt vmcnt(0) lgkmcnt(0)
	s_barrier
	s_movk_i32 s2, 0xab
	v_mul_f32_e32 v42, v5, v36
	v_mul_f32_e32 v45, v7, v11
	;; [unrolled: 1-line block ×12, first 2 shown]
	v_fma_f32 v7, v4, v35, -v42
	v_fma_f32 v10, v6, v10, -v45
	v_fmac_f32_e32 v44, v4, v36
	v_fmac_f32_e32 v46, v6, v11
	v_fma_f32 v11, v4, v39, -v47
	v_fmac_f32_e32 v48, v4, v40
	v_fma_f32 v12, v6, v12, -v49
	;; [unrolled: 2-line block ×4, first 2 shown]
	v_fmac_f32_e32 v53, v6, v15
	v_add_f32_e32 v6, v7, v10
	v_add_f32_e32 v5, v16, v7
	v_fma_f32 v16, -0.5, v6, v16
	v_sub_f32_e32 v35, v44, v46
	v_add_f32_e32 v13, v17, v44
	v_add_f32_e32 v14, v44, v46
	v_sub_f32_e32 v36, v7, v10
	v_add_f32_e32 v7, v18, v11
	v_add_f32_e32 v15, v11, v12
	;; [unrolled: 3-line block ×3, first 2 shown]
	v_sub_f32_e32 v51, v4, v8
	v_add_f32_e32 v4, v5, v10
	v_mov_b32_e32 v10, v16
	v_fmac_f32_e32 v17, -0.5, v14
	v_fmac_f32_e32 v16, 0xbf5db3d7, v35
	v_fmac_f32_e32 v10, 0x3f5db3d7, v35
	v_lshrrev_b32_e32 v35, 3, v20
	v_add_f32_e32 v8, v11, v8
	v_mov_b32_e32 v11, v17
	v_mul_u32_u24_e32 v35, 24, v35
	v_fmac_f32_e32 v17, 0x3f5db3d7, v36
	v_fmac_f32_e32 v11, 0xbf5db3d7, v36
	v_or_b32_e32 v35, v35, v41
	v_lshrrev_b32_e32 v36, 3, v25
	v_lshlrev_b32_e32 v35, 3, v35
	v_mul_lo_u32 v36, v36, 24
	v_add_f32_e32 v5, v13, v46
	v_add3_u32 v35, 0, v35, v28
	ds_write2_b64 v35, v[4:5], v[10:11] offset1:8
	ds_write_b64 v35, v[16:17] offset:128
	v_lshrrev_b32_e32 v5, 3, v29
	v_add_f32_e32 v42, v48, v50
	v_mul_lo_u32 v5, v5, 24
	v_add_f32_e32 v40, v19, v48
	v_fma_f32 v18, -0.5, v15, v18
	v_fmac_f32_e32 v19, -0.5, v42
	v_or_b32_e32 v4, v36, v41
	v_sub_f32_e32 v39, v48, v50
	v_add_f32_e32 v6, v7, v12
	v_mov_b32_e32 v12, v18
	v_mov_b32_e32 v13, v19
	v_lshlrev_b32_e32 v4, 3, v4
	v_add_f32_e32 v49, v9, v53
	v_add_f32_e32 v7, v40, v50
	v_fmac_f32_e32 v12, 0x3f5db3d7, v39
	v_fmac_f32_e32 v13, 0xbf5db3d7, v44
	v_add3_u32 v4, 0, v4, v28
	v_add_f32_e32 v48, v38, v9
	v_fma_f32 v37, -0.5, v45, v37
	v_fmac_f32_e32 v38, -0.5, v49
	v_fmac_f32_e32 v18, 0xbf5db3d7, v39
	v_fmac_f32_e32 v19, 0x3f5db3d7, v44
	ds_write2_b64 v4, v[6:7], v[12:13] offset1:8
	ds_write_b64 v4, v[18:19] offset:128
	v_or_b32_e32 v4, v5, v41
	v_sub_f32_e32 v47, v9, v53
	v_mov_b32_e32 v14, v37
	v_mov_b32_e32 v15, v38
	v_lshlrev_b32_e32 v4, 3, v4
	v_add_f32_e32 v9, v48, v53
	v_fmac_f32_e32 v14, 0x3f5db3d7, v47
	v_fmac_f32_e32 v15, 0xbf5db3d7, v51
	v_add3_u32 v4, 0, v4, v28
	v_fmac_f32_e32 v37, 0xbf5db3d7, v47
	v_fmac_f32_e32 v38, 0x3f5db3d7, v51
	ds_write2_b64 v4, v[8:9], v[14:15] offset1:8
	ds_write_b64 v4, v[37:38] offset:128
	v_mul_lo_u16_sdwa v4, v20, s2 dst_sel:DWORD dst_unused:UNUSED_PAD src0_sel:BYTE_0 src1_sel:DWORD
	v_lshrrev_b16_e32 v49, 12, v4
	v_mul_lo_u16_sdwa v6, v25, s2 dst_sel:DWORD dst_unused:UNUSED_PAD src0_sel:BYTE_0 src1_sel:DWORD
	v_mul_lo_u16_e32 v4, 24, v49
	v_lshrrev_b16_e32 v51, 12, v6
	v_sub_u16_e32 v50, v20, v4
	v_mov_b32_e32 v4, 4
	v_mul_lo_u16_e32 v6, 24, v51
	v_lshlrev_b32_sdwa v5, v4, v50 dst_sel:DWORD dst_unused:UNUSED_PAD src0_sel:DWORD src1_sel:BYTE_0
	v_sub_u16_e32 v52, v25, v6
	s_waitcnt lgkmcnt(0)
	s_barrier
	v_lshlrev_b32_sdwa v4, v4, v52 dst_sel:DWORD dst_unused:UNUSED_PAD src0_sel:DWORD src1_sel:BYTE_0
	global_load_dwordx4 v[6:9], v5, s[8:9] offset:176
	global_load_dwordx4 v[16:19], v4, s[8:9] offset:176
	s_mov_b32 s2, 0xaaab
	v_mul_u32_u24_sdwa v4, v29, s2 dst_sel:DWORD dst_unused:UNUSED_PAD src0_sel:WORD_0 src1_sel:DWORD
	v_lshrrev_b32_e32 v53, 20, v4
	v_mul_lo_u16_e32 v4, 24, v53
	v_sub_u16_e32 v54, v29, v4
	v_lshlrev_b32_e32 v4, 4, v54
	global_load_dwordx4 v[35:38], v4, s[8:9] offset:176
	ds_read_b64 v[12:13], v34
	ds_read2_b64 v[39:42], v3 offset0:56 offset1:144
	ds_read_b64 v[10:11], v32
	ds_read_b64 v[4:5], v30
	;; [unrolled: 1-line block ×3, first 2 shown]
	ds_read2_b64 v[43:46], v2 offset0:104 offset1:192
	ds_read_b64 v[14:15], v31
	s_movk_i32 s2, 0x240
	s_waitcnt vmcnt(0) lgkmcnt(0)
	s_barrier
	v_mul_f32_e32 v30, v7, v13
	v_mul_f32_e32 v7, v7, v12
	;; [unrolled: 1-line block ×6, first 2 shown]
	v_fma_f32 v12, v6, v12, -v30
	v_fmac_f32_e32 v7, v6, v13
	v_fma_f32 v6, v8, v41, -v31
	v_mul_f32_e32 v17, v19, v44
	v_fmac_f32_e32 v9, v8, v42
	v_fma_f32 v13, v16, v47, -v34
	v_fmac_f32_e32 v55, v16, v48
	v_add_f32_e32 v16, v12, v6
	v_fma_f32 v34, v18, v43, -v17
	v_add_f32_e32 v8, v10, v12
	v_sub_f32_e32 v17, v7, v9
	v_fma_f32 v10, -0.5, v16, v10
	v_add_f32_e32 v16, v11, v7
	v_add_f32_e32 v7, v7, v9
	v_fmac_f32_e32 v11, -0.5, v7
	v_add_f32_e32 v30, v8, v6
	v_add_f32_e32 v31, v16, v9
	v_sub_f32_e32 v6, v12, v6
	v_mov_b32_e32 v9, v11
	v_fmac_f32_e32 v9, 0xbf5db3d7, v6
	v_fmac_f32_e32 v11, 0x3f5db3d7, v6
	v_add_f32_e32 v6, v4, v13
	v_mul_f32_e32 v19, v19, v43
	v_add_f32_e32 v16, v6, v34
	v_add_f32_e32 v6, v13, v34
	v_fmac_f32_e32 v19, v18, v44
	v_fma_f32 v4, -0.5, v6, v4
	v_sub_f32_e32 v6, v55, v19
	v_mov_b32_e32 v18, v4
	v_mov_b32_e32 v8, v10
	v_fmac_f32_e32 v18, 0x3f5db3d7, v6
	v_fmac_f32_e32 v4, 0xbf5db3d7, v6
	v_add_f32_e32 v6, v5, v55
	v_mul_f32_e32 v56, v36, v40
	v_mul_f32_e32 v36, v36, v39
	;; [unrolled: 1-line block ×3, first 2 shown]
	v_fmac_f32_e32 v8, 0x3f5db3d7, v17
	v_fmac_f32_e32 v10, 0xbf5db3d7, v17
	v_add_f32_e32 v17, v6, v19
	v_add_f32_e32 v6, v55, v19
	v_fma_f32 v39, v35, v39, -v56
	v_fmac_f32_e32 v36, v35, v40
	v_fma_f32 v35, v45, v37, -v57
	v_fmac_f32_e32 v5, -0.5, v6
	v_mul_f32_e32 v38, v45, v38
	v_sub_f32_e32 v6, v13, v34
	v_mov_b32_e32 v19, v5
	v_add_f32_e32 v7, v39, v35
	v_fmac_f32_e32 v38, v46, v37
	v_fmac_f32_e32 v19, 0xbf5db3d7, v6
	v_fmac_f32_e32 v5, 0x3f5db3d7, v6
	v_add_f32_e32 v6, v14, v39
	v_fma_f32 v14, -0.5, v7, v14
	v_sub_f32_e32 v7, v36, v38
	v_mov_b32_e32 v12, v14
	v_add_f32_e32 v13, v36, v38
	v_fmac_f32_e32 v12, 0x3f5db3d7, v7
	v_fmac_f32_e32 v14, 0xbf5db3d7, v7
	v_add_f32_e32 v7, v15, v36
	v_fmac_f32_e32 v15, -0.5, v13
	v_add_f32_e32 v6, v6, v35
	v_sub_f32_e32 v34, v39, v35
	v_mov_b32_e32 v13, v15
	v_mov_b32_e32 v35, 3
	v_fmac_f32_e32 v13, 0xbf5db3d7, v34
	v_fmac_f32_e32 v15, 0x3f5db3d7, v34
	v_mad_u32_u24 v34, v49, s2, 0
	v_lshlrev_b32_sdwa v36, v35, v50 dst_sel:DWORD dst_unused:UNUSED_PAD src0_sel:DWORD src1_sel:BYTE_0
	v_add3_u32 v34, v34, v36, v28
	ds_write2_b64 v34, v[30:31], v[8:9] offset1:24
	ds_write_b64 v34, v[10:11] offset:384
	v_mad_u32_u24 v34, v51, s2, 0
	v_lshlrev_b32_sdwa v35, v35, v52 dst_sel:DWORD dst_unused:UNUSED_PAD src0_sel:DWORD src1_sel:BYTE_0
	v_add3_u32 v34, v34, v35, v28
	ds_write2_b64 v34, v[16:17], v[18:19] offset1:24
	ds_write_b64 v34, v[4:5] offset:384
	v_mad_u32_u24 v34, v53, s2, 0
	v_lshlrev_b32_e32 v35, 3, v54
	s_movk_i32 s2, 0x48
	v_add_f32_e32 v7, v7, v38
	v_add3_u32 v28, v34, v35, v28
	v_cmp_gt_u32_e64 s[2:3], s2, v20
	ds_write2_b64 v28, v[6:7], v[12:13] offset1:24
	ds_write_b64 v28, v[14:15] offset:384
	s_waitcnt lgkmcnt(0)
	s_barrier
	s_and_saveexec_b64 s[4:5], s[2:3]
	s_cbranch_execz .LBB0_25
; %bb.24:
	v_add_u32_e32 v0, 0x400, v21
	ds_read_b64 v[30:31], v32
	ds_read2_b64 v[8:11], v21 offset0:72 offset1:144
	ds_read2_b64 v[16:19], v0 offset0:88 offset1:160
	v_add_u32_e32 v0, 0x800, v21
	ds_read2_b64 v[4:7], v0 offset0:104 offset1:176
	ds_read2_b64 v[12:15], v3 offset0:120 offset1:192
	;; [unrolled: 1-line block ×3, first 2 shown]
.LBB0_25:
	s_or_b64 exec, exec, s[4:5]
	s_waitcnt lgkmcnt(0)
	s_barrier
	s_and_saveexec_b64 s[4:5], s[2:3]
	s_cbranch_execz .LBB0_27
; %bb.26:
	v_add_u32_e32 v28, 0xffffffb8, v20
	v_cndmask_b32_e64 v28, v28, v20, s[2:3]
	v_mul_i32_i24_e32 v34, 10, v28
	v_mov_b32_e32 v35, 0
	v_lshlrev_b64 v[34:35], 3, v[34:35]
	v_mov_b32_e32 v28, s9
	v_add_co_u32_e64 v54, s[2:3], s8, v34
	v_addc_co_u32_e64 v55, s[2:3], v28, v35, s[2:3]
	global_load_dwordx4 v[34:37], v[54:55], off offset:624
	global_load_dwordx4 v[38:41], v[54:55], off offset:560
	;; [unrolled: 1-line block ×5, first 2 shown]
	s_mov_b32 s2, 0xbf75a155
	s_mov_b32 s3, 0x3f575c64
	s_mov_b32 s6, 0xbf27a4f4
	s_mov_b32 s7, 0x3ed4b147
	s_mov_b32 s10, 0xbe11bafb
	s_waitcnt vmcnt(4)
	v_mul_f32_e32 v28, v2, v37
	s_waitcnt vmcnt(3)
	v_mul_f32_e32 v54, v8, v39
	v_mul_f32_e32 v55, v0, v35
	;; [unrolled: 1-line block ×4, first 2 shown]
	v_fmac_f32_e32 v54, v9, v38
	v_fmac_f32_e32 v28, v3, v36
	v_mul_f32_e32 v39, v9, v39
	v_mul_f32_e32 v37, v3, v37
	s_waitcnt vmcnt(2)
	v_mul_f32_e32 v57, v14, v45
	s_waitcnt vmcnt(1)
	v_mul_f32_e32 v58, v16, v47
	v_fmac_f32_e32 v56, v11, v40
	v_fmac_f32_e32 v55, v1, v34
	v_fma_f32 v34, v0, v34, -v35
	v_add_f32_e32 v35, v54, v28
	v_mul_f32_e32 v41, v11, v41
	v_mul_f32_e32 v59, v12, v43
	;; [unrolled: 1-line block ×4, first 2 shown]
	v_fma_f32 v38, v8, v38, -v39
	v_fma_f32 v36, v2, v36, -v37
	v_fmac_f32_e32 v57, v15, v44
	v_fmac_f32_e32 v58, v17, v46
	v_add_f32_e32 v37, v56, v55
	v_mul_f32_e32 v8, 0xbe11bafb, v35
	v_mul_f32_e32 v47, v17, v47
	;; [unrolled: 1-line block ×3, first 2 shown]
	s_waitcnt vmcnt(0)
	v_mul_f32_e32 v61, v6, v53
	v_mul_f32_e32 v62, v4, v51
	v_fma_f32 v39, v10, v40, -v41
	v_fmac_f32_e32 v59, v13, v42
	v_fmac_f32_e32 v60, v19, v48
	v_fma_f32 v17, v12, v42, -v43
	v_sub_f32_e32 v12, v38, v36
	v_add_f32_e32 v40, v58, v57
	v_mul_f32_e32 v9, 0xbf75a155, v37
	v_mov_b32_e32 v0, v8
	v_mul_f32_e32 v49, v19, v49
	v_fma_f32 v15, v16, v46, -v47
	v_fma_f32 v14, v14, v44, -v45
	v_fmac_f32_e32 v61, v7, v52
	v_fmac_f32_e32 v62, v5, v50
	v_sub_f32_e32 v13, v39, v34
	v_add_f32_e32 v42, v60, v59
	v_mul_f32_e32 v10, 0x3ed4b147, v40
	v_mov_b32_e32 v1, v9
	v_fmac_f32_e32 v0, 0x3f7d64f0, v12
	v_mul_f32_e32 v51, v5, v51
	v_mul_f32_e32 v53, v7, v53
	v_fma_f32 v16, v18, v48, -v49
	v_sub_f32_e32 v41, v15, v14
	v_add_f32_e32 v44, v62, v61
	v_sub_f32_e32 v47, v54, v28
	v_mul_f32_e32 v11, 0x3f575c64, v42
	v_mov_b32_e32 v2, v10
	v_fmac_f32_e32 v1, 0xbe903f40, v13
	v_add_f32_e32 v0, v31, v0
	v_fma_f32 v18, v4, v50, -v51
	v_fma_f32 v19, v6, v52, -v53
	v_sub_f32_e32 v43, v16, v17
	v_sub_f32_e32 v49, v56, v55
	v_mul_f32_e32 v51, 0xbf27a4f4, v44
	v_mul_f32_e32 v52, 0xbf7d64f0, v47
	v_mov_b32_e32 v3, v11
	v_fmac_f32_e32 v2, 0xbf68dda4, v41
	v_add_f32_e32 v0, v1, v0
	v_sub_f32_e32 v45, v18, v19
	v_add_f32_e32 v46, v38, v36
	v_mul_f32_e32 v53, 0x3e903f40, v49
	v_mov_b32_e32 v4, v51
	v_mov_b32_e32 v5, v52
	v_fmac_f32_e32 v3, 0x3f0a6770, v43
	v_add_f32_e32 v0, v2, v0
	v_sub_f32_e32 v63, v58, v57
	v_add_f32_e32 v48, v39, v34
	v_mov_b32_e32 v6, v53
	v_fmac_f32_e32 v4, 0x3f4178ce, v45
	v_fmac_f32_e32 v5, 0xbe11bafb, v46
	v_add_f32_e32 v0, v3, v0
	v_mul_f32_e32 v64, 0x3f68dda4, v63
	v_sub_f32_e32 v66, v60, v59
	v_add_f32_e32 v50, v15, v14
	v_fmac_f32_e32 v6, 0xbf75a155, v48
	v_add_f32_e32 v5, v30, v5
	v_add_f32_e32 v1, v4, v0
	v_mov_b32_e32 v0, v64
	v_mul_f32_e32 v67, 0xbf0a6770, v66
	v_add_f32_e32 v5, v6, v5
	v_fmac_f32_e32 v0, 0x3ed4b147, v50
	v_add_f32_e32 v65, v16, v17
	v_mov_b32_e32 v2, v67
	v_sub_f32_e32 v69, v62, v61
	v_add_f32_e32 v0, v0, v5
	v_fmac_f32_e32 v2, 0x3f575c64, v65
	v_mul_f32_e32 v70, 0xbf4178ce, v69
	v_add_f32_e32 v0, v2, v0
	v_add_f32_e32 v68, v18, v19
	v_mov_b32_e32 v2, v70
	v_fmac_f32_e32 v2, 0xbf27a4f4, v68
	v_mul_f32_e32 v4, 0xbf75a155, v35
	v_add_f32_e32 v0, v2, v0
	v_mov_b32_e32 v2, v4
	v_mul_f32_e32 v5, 0x3f575c64, v37
	v_fmac_f32_e32 v2, 0x3e903f40, v12
	v_mov_b32_e32 v3, v5
	v_add_f32_e32 v2, v31, v2
	v_fmac_f32_e32 v3, 0xbf0a6770, v13
	v_mul_f32_e32 v6, 0xbf27a4f4, v40
	v_add_f32_e32 v2, v3, v2
	v_mov_b32_e32 v3, v6
	v_fmac_f32_e32 v3, 0x3f4178ce, v41
	v_mul_f32_e32 v7, 0x3ed4b147, v42
	v_add_f32_e32 v2, v3, v2
	v_mov_b32_e32 v3, v7
	;; [unrolled: 4-line block ×3, first 2 shown]
	v_mul_f32_e32 v72, 0x3f0a6770, v49
	v_fmac_f32_e32 v3, 0xbf75a155, v46
	v_mov_b32_e32 v73, v72
	v_add_f32_e32 v3, v30, v3
	v_fmac_f32_e32 v73, 0x3f575c64, v48
	v_add_f32_e32 v3, v73, v3
	v_mul_f32_e32 v73, 0xbf4178ce, v63
	v_mov_b32_e32 v74, v73
	v_fmac_f32_e32 v4, 0xbe903f40, v12
	v_fmac_f32_e32 v74, 0xbf27a4f4, v50
	v_add_f32_e32 v4, v31, v4
	v_fmac_f32_e32 v5, 0x3f0a6770, v13
	v_add_f32_e32 v3, v74, v3
	v_mul_f32_e32 v74, 0x3f68dda4, v66
	v_add_f32_e32 v4, v5, v4
	v_fmac_f32_e32 v6, 0xbf4178ce, v41
	v_fma_f32 v5, v46, s2, -v71
	v_mov_b32_e32 v75, v74
	v_add_f32_e32 v4, v6, v4
	v_add_f32_e32 v5, v30, v5
	v_fma_f32 v6, v48, s3, -v72
	v_fmac_f32_e32 v75, 0x3ed4b147, v65
	v_mul_f32_e32 v76, 0xbe11bafb, v44
	v_fmac_f32_e32 v7, 0x3f68dda4, v43
	v_add_f32_e32 v5, v6, v5
	v_fma_f32 v6, v50, s6, -v73
	v_add_f32_e32 v75, v75, v3
	v_mov_b32_e32 v3, v76
	v_mul_f32_e32 v77, 0xbf7d64f0, v69
	v_add_f32_e32 v4, v7, v4
	v_add_f32_e32 v5, v6, v5
	v_fma_f32 v6, v65, s7, -v74
	v_fmac_f32_e32 v76, 0xbf7d64f0, v45
	v_add_f32_e32 v6, v6, v5
	v_add_f32_e32 v5, v76, v4
	v_fma_f32 v4, v68, s10, -v77
	v_mul_f32_e32 v71, 0xbf4178ce, v12
	v_add_f32_e32 v4, v4, v6
	v_mov_b32_e32 v6, v71
	v_mul_f32_e32 v72, 0x3f7d64f0, v13
	v_fmac_f32_e32 v6, 0xbf27a4f4, v35
	v_mov_b32_e32 v7, v72
	v_fmac_f32_e32 v8, 0xbf7d64f0, v12
	v_add_f32_e32 v6, v31, v6
	v_fmac_f32_e32 v7, 0xbe11bafb, v37
	v_mul_f32_e32 v73, 0xbf0a6770, v41
	v_add_f32_e32 v8, v31, v8
	v_fmac_f32_e32 v9, 0x3e903f40, v13
	v_fmac_f32_e32 v3, 0x3f7d64f0, v45
	v_add_f32_e32 v6, v7, v6
	v_mov_b32_e32 v7, v73
	v_add_f32_e32 v8, v9, v8
	v_fmac_f32_e32 v10, 0x3f68dda4, v41
	v_fma_f32 v9, v46, s10, -v52
	v_add_f32_e32 v3, v3, v2
	v_mov_b32_e32 v2, v77
	v_fmac_f32_e32 v7, 0x3f575c64, v40
	v_mul_f32_e32 v74, 0xbe903f40, v43
	v_add_f32_e32 v8, v10, v8
	v_add_f32_e32 v9, v30, v9
	v_fma_f32 v10, v48, s2, -v53
	v_fmac_f32_e32 v2, 0xbe11bafb, v68
	v_add_f32_e32 v6, v7, v6
	v_mov_b32_e32 v7, v74
	v_fmac_f32_e32 v11, 0xbf0a6770, v43
	v_add_f32_e32 v9, v10, v9
	v_fma_f32 v10, v50, s7, -v64
	v_add_f32_e32 v2, v2, v75
	v_fmac_f32_e32 v7, 0xbf75a155, v42
	v_mul_f32_e32 v75, 0xbf4178ce, v47
	v_add_f32_e32 v8, v11, v8
	v_add_f32_e32 v9, v10, v9
	v_fma_f32 v10, v65, s3, -v67
	v_fmac_f32_e32 v51, 0xbf4178ce, v45
	v_add_f32_e32 v6, v7, v6
	v_fma_f32 v7, v46, s6, -v75
	v_mul_f32_e32 v76, 0x3f7d64f0, v49
	v_add_f32_e32 v10, v10, v9
	v_add_f32_e32 v9, v51, v8
	v_fma_f32 v8, v68, s6, -v70
	v_mul_f32_e32 v51, 0xbf68dda4, v12
	v_add_f32_e32 v7, v30, v7
	v_fma_f32 v77, v48, s10, -v76
	v_add_f32_e32 v8, v8, v10
	v_mov_b32_e32 v10, v51
	v_mul_f32_e32 v52, 0xbf4178ce, v13
	v_add_f32_e32 v7, v77, v7
	v_mul_f32_e32 v77, 0xbf0a6770, v63
	v_fmac_f32_e32 v10, 0x3ed4b147, v35
	v_mov_b32_e32 v11, v52
	v_fma_f32 v78, v50, s3, -v77
	v_add_f32_e32 v10, v31, v10
	v_fmac_f32_e32 v11, 0xbf27a4f4, v37
	v_mul_f32_e32 v53, 0x3e903f40, v41
	v_add_f32_e32 v7, v78, v7
	v_mul_f32_e32 v78, 0xbe903f40, v66
	v_add_f32_e32 v10, v11, v10
	v_mov_b32_e32 v11, v53
	v_fma_f32 v79, v65, s2, -v78
	v_mul_f32_e32 v80, 0x3f68dda4, v45
	v_fmac_f32_e32 v11, 0xbf75a155, v40
	v_mul_f32_e32 v64, 0x3f7d64f0, v43
	v_add_f32_e32 v79, v79, v7
	v_mov_b32_e32 v7, v80
	v_add_f32_e32 v10, v11, v10
	v_mov_b32_e32 v11, v64
	v_fmac_f32_e32 v7, 0x3ed4b147, v44
	v_mul_f32_e32 v81, 0x3f68dda4, v69
	v_fmac_f32_e32 v11, 0xbe11bafb, v42
	v_mul_f32_e32 v67, 0xbf68dda4, v47
	v_add_f32_e32 v7, v7, v6
	v_fma_f32 v6, v68, s7, -v81
	v_add_f32_e32 v10, v11, v10
	v_fma_f32 v11, v46, s7, -v67
	v_mul_f32_e32 v70, 0xbf4178ce, v49
	v_add_f32_e32 v6, v6, v79
	v_add_f32_e32 v11, v30, v11
	v_fma_f32 v79, v48, s6, -v70
	v_add_f32_e32 v11, v79, v11
	v_mul_f32_e32 v79, 0x3e903f40, v63
	v_fma_f32 v82, v50, s2, -v79
	v_add_f32_e32 v11, v82, v11
	v_mul_f32_e32 v82, 0x3f7d64f0, v66
	v_fma_f32 v83, v65, s10, -v82
	v_mul_f32_e32 v84, 0x3f0a6770, v45
	v_add_f32_e32 v83, v83, v11
	v_mov_b32_e32 v11, v84
	v_fmac_f32_e32 v11, 0x3f575c64, v44
	v_mul_f32_e32 v85, 0x3f0a6770, v69
	v_add_f32_e32 v11, v11, v10
	v_fma_f32 v10, v68, s3, -v85
	v_add_f32_e32 v10, v10, v83
	v_mul_f32_e32 v83, 0xbf0a6770, v12
	v_add_f32_e32 v54, v31, v54
	v_mov_b32_e32 v12, v83
	v_mul_f32_e32 v86, 0xbf68dda4, v13
	v_add_f32_e32 v54, v54, v56
	v_fmac_f32_e32 v12, 0x3f575c64, v35
	v_mov_b32_e32 v13, v86
	v_add_f32_e32 v54, v54, v58
	v_add_f32_e32 v38, v30, v38
	;; [unrolled: 1-line block ×3, first 2 shown]
	v_fmac_f32_e32 v13, 0x3ed4b147, v37
	v_mul_f32_e32 v41, 0xbf7d64f0, v41
	v_add_f32_e32 v54, v54, v60
	v_add_f32_e32 v38, v38, v39
	;; [unrolled: 1-line block ×3, first 2 shown]
	v_mov_b32_e32 v13, v41
	v_add_f32_e32 v54, v54, v62
	v_add_f32_e32 v15, v38, v15
	v_fmac_f32_e32 v13, 0xbe11bafb, v40
	v_mul_f32_e32 v43, 0xbf4178ce, v43
	v_add_f32_e32 v54, v54, v61
	v_add_f32_e32 v15, v15, v16
	;; [unrolled: 1-line block ×3, first 2 shown]
	v_mov_b32_e32 v13, v43
	v_add_f32_e32 v54, v54, v59
	v_add_f32_e32 v15, v15, v18
	v_fmac_f32_e32 v13, 0xbf27a4f4, v42
	v_mul_f32_e32 v47, 0xbf0a6770, v47
	v_add_f32_e32 v54, v54, v57
	v_add_f32_e32 v15, v15, v19
	;; [unrolled: 1-line block ×3, first 2 shown]
	v_fma_f32 v13, v46, s3, -v47
	v_mul_f32_e32 v49, 0xbf68dda4, v49
	v_add_f32_e32 v54, v54, v55
	v_add_f32_e32 v15, v15, v17
	v_fma_f32 v16, v35, s6, -v71
	v_add_f32_e32 v13, v30, v13
	v_fma_f32 v87, v48, s7, -v49
	v_mul_f32_e32 v63, 0xbf7d64f0, v63
	v_add_f32_e32 v14, v15, v14
	v_add_f32_e32 v15, v54, v28
	;; [unrolled: 1-line block ×3, first 2 shown]
	v_fma_f32 v17, v37, s10, -v72
	v_fma_f32 v18, v35, s7, -v51
	;; [unrolled: 1-line block ×3, first 2 shown]
	v_add_f32_e32 v13, v87, v13
	v_fma_f32 v87, v50, s10, -v63
	v_mul_f32_e32 v66, 0xbf4178ce, v66
	v_add_f32_e32 v16, v17, v16
	v_fma_f32 v17, v40, s3, -v73
	v_add_f32_e32 v18, v31, v18
	v_fma_f32 v19, v37, s6, -v52
	;; [unrolled: 2-line block ×4, first 2 shown]
	v_mul_f32_e32 v45, 0xbe903f40, v45
	v_add_f32_e32 v16, v17, v16
	v_fma_f32 v17, v42, s2, -v74
	v_add_f32_e32 v18, v19, v18
	v_fma_f32 v19, v40, s2, -v53
	;; [unrolled: 2-line block ×3, first 2 shown]
	v_add_f32_e32 v87, v87, v13
	v_mov_b32_e32 v13, v45
	v_add_f32_e32 v16, v17, v16
	v_fma_f32 v17, v44, s7, -v80
	v_fmac_f32_e32 v75, 0xbf27a4f4, v46
	v_add_f32_e32 v18, v19, v18
	v_fma_f32 v19, v42, s10, -v64
	v_add_f32_e32 v28, v31, v28
	v_fma_f32 v31, v42, s6, -v43
	v_fmac_f32_e32 v13, 0xbf75a155, v44
	v_mul_f32_e32 v69, 0xbe903f40, v69
	v_add_f32_e32 v14, v14, v34
	v_add_f32_e32 v17, v17, v16
	;; [unrolled: 1-line block ×3, first 2 shown]
	v_fmac_f32_e32 v76, 0xbe11bafb, v48
	v_add_f32_e32 v18, v19, v18
	v_fma_f32 v19, v44, s3, -v84
	v_fmac_f32_e32 v67, 0x3ed4b147, v46
	v_add_f32_e32 v28, v31, v28
	v_fma_f32 v31, v44, s2, -v45
	;; [unrolled: 3-line block ×3, first 2 shown]
	v_add_f32_e32 v14, v14, v36
	v_add_f32_e32 v16, v76, v16
	v_fmac_f32_e32 v77, 0x3f575c64, v50
	v_add_f32_e32 v19, v19, v18
	v_add_f32_e32 v18, v30, v67
	v_fmac_f32_e32 v70, 0xbf27a4f4, v48
	;; [unrolled: 3-line block ×4, first 2 shown]
	v_add_f32_e32 v18, v70, v18
	v_fmac_f32_e32 v79, 0xbf75a155, v50
	v_add_f32_e32 v28, v49, v28
	v_fmac_f32_e32 v63, 0xbe11bafb, v50
	ds_write_b64 v32, v[14:15]
	ds_write2_b64 v21, v[12:13], v[10:11] offset0:72 offset1:144
	v_add_u32_e32 v10, 0x400, v21
	v_add_f32_e32 v16, v78, v16
	v_fmac_f32_e32 v81, 0x3ed4b147, v68
	v_add_f32_e32 v18, v79, v18
	v_fmac_f32_e32 v82, 0xbe11bafb, v65
	;; [unrolled: 2-line block ×3, first 2 shown]
	ds_write2_b64 v10, v[8:9], v[6:7] offset0:88 offset1:160
	v_add_u32_e32 v6, 0x800, v21
	v_add_f32_e32 v16, v81, v16
	v_add_f32_e32 v18, v82, v18
	v_fmac_f32_e32 v85, 0x3f575c64, v68
	v_add_f32_e32 v28, v66, v28
	v_fmac_f32_e32 v69, 0xbf75a155, v68
	ds_write2_b64 v6, v[4:5], v[2:3] offset0:104 offset1:176
	v_add_u32_e32 v2, 0xc00, v21
	v_add_f32_e32 v18, v85, v18
	v_add_f32_e32 v30, v69, v28
	ds_write2_b64 v2, v[16:17], v[0:1] offset0:120 offset1:192
	v_add_u32_e32 v0, 0x1000, v21
	ds_write2_b64 v0, v[18:19], v[30:31] offset0:136 offset1:208
.LBB0_27:
	s_or_b64 exec, exec, s[4:5]
	s_waitcnt lgkmcnt(0)
	s_barrier
	ds_read_b64 v[2:3], v32
	s_add_u32 s6, s8, 0x18b0
	s_addc_u32 s7, s9, 0
	v_sub_u32_e32 v4, v33, v26
	v_cmp_ne_u32_e64 s[2:3], 0, v20
                                        ; implicit-def: $vgpr1
                                        ; implicit-def: $vgpr5
	s_and_saveexec_b64 s[4:5], s[2:3]
	s_xor_b64 s[4:5], exec, s[4:5]
	s_cbranch_execz .LBB0_29
; %bb.28:
	v_mov_b32_e32 v21, 0
	v_lshlrev_b64 v[0:1], 3, v[20:21]
	v_mov_b32_e32 v5, s7
	v_add_co_u32_e64 v0, s[2:3], s6, v0
	v_addc_co_u32_e64 v1, s[2:3], v5, v1, s[2:3]
	global_load_dwordx2 v[6:7], v[0:1], off
	ds_read_b64 v[0:1], v4 offset:6336
	s_waitcnt lgkmcnt(0)
	v_add_f32_e32 v8, v0, v2
	v_sub_f32_e32 v0, v2, v0
	v_add_f32_e32 v5, v1, v3
	v_sub_f32_e32 v1, v3, v1
	v_mul_f32_e32 v3, 0.5, v0
	v_mul_f32_e32 v0, 0.5, v1
	;; [unrolled: 1-line block ×3, first 2 shown]
	s_waitcnt vmcnt(0)
	v_mul_f32_e32 v1, v7, v3
	v_fma_f32 v9, 0.5, v8, v1
	v_fma_f32 v5, v2, v7, v0
	v_fma_f32 v7, v2, v7, -v0
	v_fma_f32 v0, v8, 0.5, -v1
	v_fmac_f32_e32 v9, v6, v2
	v_fma_f32 v5, -v6, v3, v5
	v_fma_f32 v0, -v6, v2, v0
	ds_write_b32 v32, v9
	v_fma_f32 v1, -v6, v3, v7
                                        ; implicit-def: $vgpr2_vgpr3
.LBB0_29:
	s_andn2_saveexec_b64 s[2:3], s[4:5]
	s_cbranch_execz .LBB0_31
; %bb.30:
	ds_read_b32 v1, v33 offset:3172
	v_mov_b32_e32 v5, 0
	s_waitcnt lgkmcnt(1)
	v_add_f32_e32 v6, v2, v3
	v_sub_f32_e32 v0, v2, v3
	ds_write_b32 v32, v6
	s_waitcnt lgkmcnt(1)
	v_xor_b32_e32 v1, 0x80000000, v1
	ds_write_b32 v33, v1 offset:3172
	v_mov_b32_e32 v1, v5
.LBB0_31:
	s_or_b64 exec, exec, s[2:3]
	v_mov_b32_e32 v26, 0
	s_waitcnt lgkmcnt(0)
	v_lshlrev_b64 v[2:3], 3, v[25:26]
	v_mov_b32_e32 v6, s7
	v_add_co_u32_e64 v2, s[2:3], s6, v2
	v_addc_co_u32_e64 v3, s[2:3], v6, v3, s[2:3]
	global_load_dwordx2 v[2:3], v[2:3], off
	v_mov_b32_e32 v30, v26
	v_lshlrev_b64 v[6:7], 3, v[29:30]
	v_mov_b32_e32 v8, s7
	v_add_co_u32_e64 v6, s[2:3], s6, v6
	v_addc_co_u32_e64 v7, s[2:3], v8, v7, s[2:3]
	global_load_dwordx2 v[6:7], v[6:7], off
	v_mov_b32_e32 v28, v26
	v_lshlrev_b64 v[8:9], 3, v[27:28]
	v_mov_b32_e32 v10, s7
	v_add_co_u32_e64 v8, s[2:3], s6, v8
	v_addc_co_u32_e64 v9, s[2:3], v10, v9, s[2:3]
	global_load_dwordx2 v[8:9], v[8:9], off
	ds_write_b32 v32, v5 offset:4
	ds_write_b64 v4, v[0:1] offset:6336
	v_lshl_add_u32 v5, v25, 3, v33
	ds_read_b64 v[0:1], v5
	ds_read_b64 v[10:11], v4 offset:5632
	v_lshl_add_u32 v12, v29, 3, v33
	s_waitcnt lgkmcnt(0)
	v_add_f32_e32 v13, v0, v10
	v_sub_f32_e32 v0, v0, v10
	v_add_f32_e32 v14, v1, v11
	v_sub_f32_e32 v1, v1, v11
	v_mul_f32_e32 v11, 0.5, v0
	v_mul_f32_e32 v10, 0.5, v14
	;; [unrolled: 1-line block ×3, first 2 shown]
	s_waitcnt vmcnt(2)
	v_mul_f32_e32 v14, v3, v11
	v_fma_f32 v1, v10, v3, v0
	v_fma_f32 v3, v10, v3, -v0
	v_fma_f32 v0, 0.5, v13, v14
	v_fma_f32 v1, -v2, v11, v1
	v_fma_f32 v13, v13, 0.5, -v14
	v_fmac_f32_e32 v0, v2, v10
	v_fma_f32 v3, -v2, v11, v3
	v_fma_f32 v2, -v2, v10, v13
	ds_write_b64 v5, v[0:1]
	ds_write_b64 v4, v[2:3] offset:5632
	ds_read_b64 v[0:1], v12
	ds_read_b64 v[2:3], v4 offset:4928
	v_lshl_add_u32 v5, v27, 3, v33
	s_waitcnt lgkmcnt(0)
	v_add_f32_e32 v10, v0, v2
	v_sub_f32_e32 v0, v0, v2
	v_add_f32_e32 v11, v1, v3
	v_sub_f32_e32 v1, v1, v3
	v_mul_f32_e32 v3, 0.5, v0
	v_mul_f32_e32 v2, 0.5, v11
	;; [unrolled: 1-line block ×3, first 2 shown]
	s_waitcnt vmcnt(1)
	v_mul_f32_e32 v11, v7, v3
	v_fma_f32 v1, v2, v7, v0
	v_fma_f32 v7, v2, v7, -v0
	v_fma_f32 v0, 0.5, v10, v11
	v_fma_f32 v1, -v6, v3, v1
	v_fma_f32 v10, v10, 0.5, -v11
	v_fmac_f32_e32 v0, v6, v2
	v_fma_f32 v3, -v6, v3, v7
	v_fma_f32 v2, -v6, v2, v10
	ds_write_b64 v12, v[0:1]
	ds_write_b64 v4, v[2:3] offset:4928
	ds_read_b64 v[0:1], v5
	ds_read_b64 v[2:3], v4 offset:4224
	s_waitcnt lgkmcnt(0)
	v_add_f32_e32 v6, v0, v2
	v_sub_f32_e32 v0, v0, v2
	v_add_f32_e32 v7, v1, v3
	v_sub_f32_e32 v1, v1, v3
	v_mul_f32_e32 v3, 0.5, v0
	v_mul_f32_e32 v2, 0.5, v7
	;; [unrolled: 1-line block ×3, first 2 shown]
	s_waitcnt vmcnt(0)
	v_mul_f32_e32 v7, v9, v3
	v_fma_f32 v1, v2, v9, v0
	v_fma_f32 v9, v2, v9, -v0
	v_fma_f32 v0, 0.5, v6, v7
	v_fma_f32 v1, -v8, v3, v1
	v_fma_f32 v6, v6, 0.5, -v7
	v_fmac_f32_e32 v0, v8, v2
	v_fma_f32 v3, -v8, v3, v9
	v_fma_f32 v2, -v8, v2, v6
	ds_write_b64 v5, v[0:1]
	ds_write_b64 v4, v[2:3] offset:4224
	s_and_saveexec_b64 s[2:3], vcc
	s_cbranch_execz .LBB0_33
; %bb.32:
	v_mov_b32_e32 v25, v26
	v_lshlrev_b64 v[0:1], 3, v[24:25]
	v_mov_b32_e32 v2, s7
	v_add_co_u32_e32 v0, vcc, s6, v0
	v_addc_co_u32_e32 v1, vcc, v2, v1, vcc
	global_load_dwordx2 v[0:1], v[0:1], off
	v_lshl_add_u32 v7, v24, 3, v33
	ds_read_b64 v[2:3], v7
	ds_read_b64 v[5:6], v4 offset:3520
	s_waitcnt lgkmcnt(0)
	v_add_f32_e32 v8, v2, v5
	v_sub_f32_e32 v2, v2, v5
	v_add_f32_e32 v9, v3, v6
	v_sub_f32_e32 v3, v3, v6
	v_mul_f32_e32 v6, 0.5, v2
	v_mul_f32_e32 v5, 0.5, v9
	;; [unrolled: 1-line block ×3, first 2 shown]
	s_waitcnt vmcnt(0)
	v_mul_f32_e32 v3, v1, v6
	v_fma_f32 v9, v5, v1, v2
	v_fma_f32 v10, v5, v1, -v2
	v_fma_f32 v1, 0.5, v8, v3
	v_fma_f32 v2, -v0, v6, v9
	v_fma_f32 v3, v8, 0.5, -v3
	v_fmac_f32_e32 v1, v0, v5
	v_fma_f32 v6, -v0, v6, v10
	v_fma_f32 v5, -v0, v5, v3
	ds_write_b64 v7, v[1:2]
	ds_write_b64 v4, v[5:6] offset:3520
.LBB0_33:
	s_or_b64 exec, exec, s[2:3]
	s_waitcnt lgkmcnt(0)
	s_barrier
	s_and_saveexec_b64 s[2:3], s[0:1]
	s_cbranch_execz .LBB0_36
; %bb.34:
	v_mov_b32_e32 v21, 0
	v_mov_b32_e32 v0, s13
	v_add_co_u32_e32 v1, vcc, s12, v22
	v_lshlrev_b64 v[6:7], 3, v[20:21]
	ds_read2_b64 v[2:5], v32 offset1:88
	v_addc_co_u32_e32 v0, vcc, v0, v23, vcc
	v_add_co_u32_e32 v14, vcc, v1, v6
	v_add_u32_e32 v6, 0x400, v32
	v_addc_co_u32_e32 v15, vcc, v0, v7, vcc
	ds_read2_b64 v[6:9], v6 offset0:48 offset1:136
	v_add_u32_e32 v10, 0x800, v32
	ds_read2_b64 v[10:13], v10 offset0:96 offset1:184
	s_waitcnt lgkmcnt(2)
	global_store_dwordx2 v[14:15], v[2:3], off
	global_store_dwordx2 v[14:15], v[4:5], off offset:704
	s_waitcnt lgkmcnt(1)
	global_store_dwordx2 v[14:15], v[6:7], off offset:1408
	global_store_dwordx2 v[14:15], v[8:9], off offset:2112
	s_waitcnt lgkmcnt(0)
	global_store_dwordx2 v[14:15], v[10:11], off offset:2816
	global_store_dwordx2 v[14:15], v[12:13], off offset:3520
	v_add_u32_e32 v2, 0x1000, v32
	ds_read2_b64 v[2:5], v2 offset0:16 offset1:104
	v_add_co_u32_e32 v6, vcc, 0x1000, v14
	ds_read_b64 v[8:9], v32 offset:5632
	v_addc_co_u32_e32 v7, vcc, 0, v15, vcc
	s_movk_i32 s0, 0x57
	v_cmp_eq_u32_e32 vcc, s0, v20
	s_waitcnt lgkmcnt(1)
	global_store_dwordx2 v[6:7], v[2:3], off offset:128
	global_store_dwordx2 v[6:7], v[4:5], off offset:832
	s_waitcnt lgkmcnt(0)
	global_store_dwordx2 v[6:7], v[8:9], off offset:1536
	s_and_b64 exec, exec, vcc
	s_cbranch_execz .LBB0_36
; %bb.35:
	ds_read_b64 v[2:3], v32 offset:5640
	v_add_co_u32_e32 v4, vcc, 0x1000, v1
	v_addc_co_u32_e32 v5, vcc, 0, v0, vcc
	s_waitcnt lgkmcnt(0)
	global_store_dwordx2 v[4:5], v[2:3], off offset:2240
.LBB0_36:
	s_endpgm
	.section	.rodata,"a",@progbits
	.p2align	6, 0x0
	.amdhsa_kernel fft_rtc_fwd_len792_factors_2_2_2_3_3_11_wgs_176_tpt_88_sp_ip_CI_unitstride_sbrr_R2C_dirReg
		.amdhsa_group_segment_fixed_size 0
		.amdhsa_private_segment_fixed_size 0
		.amdhsa_kernarg_size 88
		.amdhsa_user_sgpr_count 6
		.amdhsa_user_sgpr_private_segment_buffer 1
		.amdhsa_user_sgpr_dispatch_ptr 0
		.amdhsa_user_sgpr_queue_ptr 0
		.amdhsa_user_sgpr_kernarg_segment_ptr 1
		.amdhsa_user_sgpr_dispatch_id 0
		.amdhsa_user_sgpr_flat_scratch_init 0
		.amdhsa_user_sgpr_private_segment_size 0
		.amdhsa_uses_dynamic_stack 0
		.amdhsa_system_sgpr_private_segment_wavefront_offset 0
		.amdhsa_system_sgpr_workgroup_id_x 1
		.amdhsa_system_sgpr_workgroup_id_y 0
		.amdhsa_system_sgpr_workgroup_id_z 0
		.amdhsa_system_sgpr_workgroup_info 0
		.amdhsa_system_vgpr_workitem_id 0
		.amdhsa_next_free_vgpr 88
		.amdhsa_next_free_sgpr 22
		.amdhsa_reserve_vcc 1
		.amdhsa_reserve_flat_scratch 0
		.amdhsa_float_round_mode_32 0
		.amdhsa_float_round_mode_16_64 0
		.amdhsa_float_denorm_mode_32 3
		.amdhsa_float_denorm_mode_16_64 3
		.amdhsa_dx10_clamp 1
		.amdhsa_ieee_mode 1
		.amdhsa_fp16_overflow 0
		.amdhsa_exception_fp_ieee_invalid_op 0
		.amdhsa_exception_fp_denorm_src 0
		.amdhsa_exception_fp_ieee_div_zero 0
		.amdhsa_exception_fp_ieee_overflow 0
		.amdhsa_exception_fp_ieee_underflow 0
		.amdhsa_exception_fp_ieee_inexact 0
		.amdhsa_exception_int_div_zero 0
	.end_amdhsa_kernel
	.text
.Lfunc_end0:
	.size	fft_rtc_fwd_len792_factors_2_2_2_3_3_11_wgs_176_tpt_88_sp_ip_CI_unitstride_sbrr_R2C_dirReg, .Lfunc_end0-fft_rtc_fwd_len792_factors_2_2_2_3_3_11_wgs_176_tpt_88_sp_ip_CI_unitstride_sbrr_R2C_dirReg
                                        ; -- End function
	.section	.AMDGPU.csdata,"",@progbits
; Kernel info:
; codeLenInByte = 7896
; NumSgprs: 26
; NumVgprs: 88
; ScratchSize: 0
; MemoryBound: 0
; FloatMode: 240
; IeeeMode: 1
; LDSByteSize: 0 bytes/workgroup (compile time only)
; SGPRBlocks: 3
; VGPRBlocks: 21
; NumSGPRsForWavesPerEU: 26
; NumVGPRsForWavesPerEU: 88
; Occupancy: 2
; WaveLimiterHint : 1
; COMPUTE_PGM_RSRC2:SCRATCH_EN: 0
; COMPUTE_PGM_RSRC2:USER_SGPR: 6
; COMPUTE_PGM_RSRC2:TRAP_HANDLER: 0
; COMPUTE_PGM_RSRC2:TGID_X_EN: 1
; COMPUTE_PGM_RSRC2:TGID_Y_EN: 0
; COMPUTE_PGM_RSRC2:TGID_Z_EN: 0
; COMPUTE_PGM_RSRC2:TIDIG_COMP_CNT: 0
	.type	__hip_cuid_654d9c73efd09725,@object ; @__hip_cuid_654d9c73efd09725
	.section	.bss,"aw",@nobits
	.globl	__hip_cuid_654d9c73efd09725
__hip_cuid_654d9c73efd09725:
	.byte	0                               ; 0x0
	.size	__hip_cuid_654d9c73efd09725, 1

	.ident	"AMD clang version 19.0.0git (https://github.com/RadeonOpenCompute/llvm-project roc-6.4.0 25133 c7fe45cf4b819c5991fe208aaa96edf142730f1d)"
	.section	".note.GNU-stack","",@progbits
	.addrsig
	.addrsig_sym __hip_cuid_654d9c73efd09725
	.amdgpu_metadata
---
amdhsa.kernels:
  - .args:
      - .actual_access:  read_only
        .address_space:  global
        .offset:         0
        .size:           8
        .value_kind:     global_buffer
      - .offset:         8
        .size:           8
        .value_kind:     by_value
      - .actual_access:  read_only
        .address_space:  global
        .offset:         16
        .size:           8
        .value_kind:     global_buffer
      - .actual_access:  read_only
        .address_space:  global
        .offset:         24
        .size:           8
        .value_kind:     global_buffer
      - .offset:         32
        .size:           8
        .value_kind:     by_value
      - .actual_access:  read_only
        .address_space:  global
        .offset:         40
        .size:           8
        .value_kind:     global_buffer
      - .actual_access:  read_only
        .address_space:  global
        .offset:         48
        .size:           8
        .value_kind:     global_buffer
      - .offset:         56
        .size:           4
        .value_kind:     by_value
      - .actual_access:  read_only
        .address_space:  global
        .offset:         64
        .size:           8
        .value_kind:     global_buffer
      - .actual_access:  read_only
        .address_space:  global
        .offset:         72
        .size:           8
        .value_kind:     global_buffer
      - .address_space:  global
        .offset:         80
        .size:           8
        .value_kind:     global_buffer
    .group_segment_fixed_size: 0
    .kernarg_segment_align: 8
    .kernarg_segment_size: 88
    .language:       OpenCL C
    .language_version:
      - 2
      - 0
    .max_flat_workgroup_size: 176
    .name:           fft_rtc_fwd_len792_factors_2_2_2_3_3_11_wgs_176_tpt_88_sp_ip_CI_unitstride_sbrr_R2C_dirReg
    .private_segment_fixed_size: 0
    .sgpr_count:     26
    .sgpr_spill_count: 0
    .symbol:         fft_rtc_fwd_len792_factors_2_2_2_3_3_11_wgs_176_tpt_88_sp_ip_CI_unitstride_sbrr_R2C_dirReg.kd
    .uniform_work_group_size: 1
    .uses_dynamic_stack: false
    .vgpr_count:     88
    .vgpr_spill_count: 0
    .wavefront_size: 64
amdhsa.target:   amdgcn-amd-amdhsa--gfx906
amdhsa.version:
  - 1
  - 2
...

	.end_amdgpu_metadata
